;; amdgpu-corpus repo=ROCm/rocFFT kind=compiled arch=gfx1201 opt=O3
	.text
	.amdgcn_target "amdgcn-amd-amdhsa--gfx1201"
	.amdhsa_code_object_version 6
	.protected	fft_rtc_fwd_len243_factors_9_9_3_wgs_108_tpt_27_dim1_sp_ip_CI_sbrr ; -- Begin function fft_rtc_fwd_len243_factors_9_9_3_wgs_108_tpt_27_dim1_sp_ip_CI_sbrr
	.globl	fft_rtc_fwd_len243_factors_9_9_3_wgs_108_tpt_27_dim1_sp_ip_CI_sbrr
	.p2align	8
	.type	fft_rtc_fwd_len243_factors_9_9_3_wgs_108_tpt_27_dim1_sp_ip_CI_sbrr,@function
fft_rtc_fwd_len243_factors_9_9_3_wgs_108_tpt_27_dim1_sp_ip_CI_sbrr: ; @fft_rtc_fwd_len243_factors_9_9_3_wgs_108_tpt_27_dim1_sp_ip_CI_sbrr
; %bb.0:
	s_load_b128 s[8:11], s[0:1], 0x10
	v_mul_u32_u24_e32 v3, 0x97c, v0
                                        ; implicit-def: $vgpr15
                                        ; implicit-def: $vgpr14
	s_load_b64 s[2:3], s[0:1], 0x48
	s_delay_alu instid0(VALU_DEP_1) | instskip(NEXT) | instid1(VALU_DEP_1)
	v_lshrrev_b32_e32 v5, 16, v3
	v_lshl_add_u32 v4, ttmp9, 2, v5
	v_mul_lo_u16 v5, v5, 27
	s_delay_alu instid0(VALU_DEP_1)
	v_sub_nc_u16 v6, v0, v5
	v_bfe_u32 v0, v3, 16, 2
	s_wait_kmcnt 0x0
	s_load_b128 s[4:7], s[8:9], 0x0
	s_load_b64 s[8:9], s[0:1], 0x0
	v_and_b32_e32 v9, 0xffff, v6
	s_delay_alu instid0(VALU_DEP_1) | instskip(NEXT) | instid1(VALU_DEP_1)
	v_dual_mov_b32 v5, 0 :: v_dual_add_nc_u32 v8, 54, v9
	v_cmp_gt_u64_e32 vcc_lo, s[10:11], v[4:5]
	v_cmp_le_u64_e64 s0, s[10:11], v[4:5]
	v_add_nc_u32_e32 v7, 27, v9
	s_wait_kmcnt 0x0
	v_mad_co_u64_u32 v[1:2], null, s6, v4, 0
	s_delay_alu instid0(VALU_DEP_1) | instskip(NEXT) | instid1(VALU_DEP_4)
	v_mad_co_u64_u32 v[2:3], null, s7, v4, v[2:3]
	s_and_saveexec_b32 s1, s0
	s_wait_alu 0xfffe
	s_xor_b32 s0, exec_lo, s1
; %bb.1:
	v_add_nc_u32_e32 v15, 27, v9
	v_add_nc_u32_e32 v14, 54, v9
; %bb.2:
	s_wait_alu 0xfffe
	s_or_saveexec_b32 s1, s0
	v_mul_u32_u24_e32 v3, 0xf3, v0
	v_lshlrev_b64_e32 v[0:1], 3, v[1:2]
	v_lshlrev_b32_e32 v11, 3, v9
	v_add_nc_u32_e32 v10, 0x51, v9
	v_add_nc_u32_e32 v6, 0x6c, v9
	v_lshlrev_b32_e32 v13, 3, v3
	v_add_nc_u32_e32 v5, 0x87, v9
	v_add_nc_u32_e32 v4, 0xa2, v9
	;; [unrolled: 1-line block ×4, first 2 shown]
	s_wait_alu 0xfffe
	s_xor_b32 exec_lo, exec_lo, s1
	s_cbranch_execz .LBB0_4
; %bb.3:
	v_mad_co_u64_u32 v[14:15], null, s4, v9, 0
	v_mad_co_u64_u32 v[16:17], null, s4, v7, 0
	;; [unrolled: 1-line block ×3, first 2 shown]
	v_add_co_u32 v37, s0, s2, v0
	s_delay_alu instid0(VALU_DEP_4) | instskip(SKIP_2) | instid1(VALU_DEP_2)
	v_mov_b32_e32 v12, v15
	s_wait_alu 0xf1ff
	v_add_co_ci_u32_e64 v38, s0, s3, v1, s0
	v_mad_co_u64_u32 v[18:19], null, s5, v9, v[12:13]
	v_mov_b32_e32 v12, v17
	v_mad_co_u64_u32 v[19:20], null, s4, v8, 0
	s_delay_alu instid0(VALU_DEP_2) | instskip(NEXT) | instid1(VALU_DEP_4)
	v_mad_co_u64_u32 v[23:24], null, s5, v7, v[12:13]
	v_dual_mov_b32 v15, v18 :: v_dual_mov_b32 v18, v22
	s_delay_alu instid0(VALU_DEP_3) | instskip(NEXT) | instid1(VALU_DEP_2)
	v_mov_b32_e32 v12, v20
	v_lshlrev_b64_e32 v[14:15], 3, v[14:15]
	s_delay_alu instid0(VALU_DEP_4) | instskip(NEXT) | instid1(VALU_DEP_3)
	v_mov_b32_e32 v17, v23
	v_mad_co_u64_u32 v[22:23], null, s5, v8, v[12:13]
	v_mad_co_u64_u32 v[23:24], null, s5, v10, v[18:19]
	;; [unrolled: 1-line block ×3, first 2 shown]
	s_delay_alu instid0(VALU_DEP_4)
	v_lshlrev_b64_e32 v[16:17], 3, v[16:17]
	v_add_co_u32 v14, s0, v37, v14
	v_mov_b32_e32 v20, v22
	v_mov_b32_e32 v22, v23
	s_wait_alu 0xf1ff
	v_add_co_ci_u32_e64 v15, s0, v38, v15, s0
	v_mov_b32_e32 v12, v25
	v_lshlrev_b64_e32 v[18:19], 3, v[19:20]
	v_lshlrev_b64_e32 v[20:21], 3, v[21:22]
	v_mad_co_u64_u32 v[22:23], null, s4, v5, 0
	s_delay_alu instid0(VALU_DEP_4) | instskip(SKIP_2) | instid1(VALU_DEP_4)
	v_mad_co_u64_u32 v[25:26], null, s5, v6, v[12:13]
	v_mad_co_u64_u32 v[26:27], null, s4, v4, 0
	v_add_co_u32 v16, s0, v37, v16
	v_mov_b32_e32 v12, v23
	s_wait_alu 0xf1ff
	v_add_co_ci_u32_e64 v17, s0, v38, v17, s0
	v_add_co_u32 v18, s0, v37, v18
	v_mov_b32_e32 v23, v27
	v_mad_co_u64_u32 v[27:28], null, s5, v5, v[12:13]
	v_mad_co_u64_u32 v[28:29], null, s4, v3, 0
	s_delay_alu instid0(VALU_DEP_3) | instskip(SKIP_3) | instid1(VALU_DEP_4)
	v_mad_co_u64_u32 v[30:31], null, s5, v4, v[23:24]
	v_mad_co_u64_u32 v[31:32], null, s4, v2, 0
	s_wait_alu 0xf1ff
	v_add_co_ci_u32_e64 v19, s0, v38, v19, s0
	v_mov_b32_e32 v12, v29
	v_add_co_u32 v20, s0, v37, v20
	s_wait_alu 0xf1ff
	v_add_co_ci_u32_e64 v21, s0, v38, v21, s0
	s_clause 0x3
	global_load_b64 v[33:34], v[14:15], off
	global_load_b64 v[16:17], v[16:17], off
	global_load_b64 v[18:19], v[18:19], off
	global_load_b64 v[20:21], v[20:21], off
	v_lshlrev_b64_e32 v[14:15], 3, v[24:25]
	v_mad_co_u64_u32 v[24:25], null, s5, v3, v[12:13]
	v_dual_mov_b32 v12, v32 :: v_dual_mov_b32 v23, v27
	v_mov_b32_e32 v27, v30
	s_delay_alu instid0(VALU_DEP_4) | instskip(NEXT) | instid1(VALU_DEP_3)
	v_add_co_u32 v14, s0, v37, v14
	v_mad_co_u64_u32 v[35:36], null, s5, v2, v[12:13]
	s_delay_alu instid0(VALU_DEP_4)
	v_lshlrev_b64_e32 v[22:23], 3, v[22:23]
	v_mov_b32_e32 v29, v24
	v_lshlrev_b64_e32 v[25:26], 3, v[26:27]
	s_wait_alu 0xf1ff
	v_add_co_ci_u32_e64 v15, s0, v38, v15, s0
	v_add3_u32 v12, 0, v13, v11
	v_mov_b32_e32 v32, v35
	v_add_co_u32 v22, s0, v37, v22
	v_lshlrev_b64_e32 v[27:28], 3, v[28:29]
	s_wait_alu 0xf1ff
	v_add_co_ci_u32_e64 v23, s0, v38, v23, s0
	v_add_co_u32 v24, s0, v37, v25
	v_lshlrev_b64_e32 v[29:30], 3, v[31:32]
	s_wait_alu 0xf1ff
	v_add_co_ci_u32_e64 v25, s0, v38, v26, s0
	v_add_co_u32 v26, s0, v37, v27
	s_wait_alu 0xf1ff
	v_add_co_ci_u32_e64 v27, s0, v38, v28, s0
	v_add_co_u32 v28, s0, v37, v29
	s_wait_alu 0xf1ff
	v_add_co_ci_u32_e64 v29, s0, v38, v30, s0
	s_clause 0x4
	global_load_b64 v[30:31], v[14:15], off
	global_load_b64 v[22:23], v[22:23], off
	;; [unrolled: 1-line block ×5, first 2 shown]
	v_dual_mov_b32 v15, v7 :: v_dual_mov_b32 v14, v8
	s_wait_loadcnt 0x7
	ds_store_2addr_b64 v12, v[33:34], v[16:17] offset1:27
	s_wait_loadcnt 0x5
	ds_store_2addr_b64 v12, v[18:19], v[20:21] offset0:54 offset1:81
	s_wait_loadcnt 0x3
	ds_store_2addr_b64 v12, v[30:31], v[22:23] offset0:108 offset1:135
	;; [unrolled: 2-line block ×3, first 2 shown]
	s_wait_loadcnt 0x0
	ds_store_b64 v12, v[28:29] offset:1728
.LBB0_4:
	s_or_b32 exec_lo, exec_lo, s1
	v_add3_u32 v12, 0, v11, v13
	global_wb scope:SCOPE_SE
	s_wait_dscnt 0x0
	s_barrier_signal -1
	s_barrier_wait -1
	global_inv scope:SCOPE_SE
	ds_load_2addr_b64 v[17:20], v12 offset0:27 offset1:54
	ds_load_2addr_b64 v[21:24], v12 offset0:189 offset1:216
	ds_load_2addr_b64 v[25:28], v12 offset0:81 offset1:108
	ds_load_2addr_b64 v[29:32], v12 offset0:135 offset1:162
	s_wait_dscnt 0x2
	v_dual_add_f32 v35, v17, v23 :: v_dual_add_nc_u32 v16, 0, v13
	s_delay_alu instid0(VALU_DEP_1)
	v_dual_add_f32 v36, v18, v24 :: v_dual_add_nc_u32 v11, v16, v11
	v_dual_sub_f32 v41, v17, v23 :: v_dual_sub_f32 v42, v18, v24
	v_dual_add_f32 v37, v19, v21 :: v_dual_add_f32 v38, v20, v22
	ds_load_b64 v[33:34], v11
	v_dual_sub_f32 v43, v19, v21 :: v_dual_sub_f32 v44, v20, v22
	v_dual_mul_f32 v20, 0x3f248dbb, v41 :: v_dual_mul_f32 v21, 0x3f248dbb, v42
	s_wait_dscnt 0x1
	v_dual_add_f32 v39, v25, v31 :: v_dual_add_f32 v40, v26, v32
	v_dual_sub_f32 v31, v25, v31 :: v_dual_sub_f32 v32, v26, v32
	v_dual_add_f32 v47, v27, v29 :: v_dual_add_f32 v48, v28, v30
	v_dual_fmac_f32 v20, 0x3f7c1c5c, v43 :: v_dual_fmac_f32 v21, 0x3f7c1c5c, v44
	v_dual_sub_f32 v45, v27, v29 :: v_dual_sub_f32 v46, v28, v30
	v_add_f32_e32 v51, v37, v35
	s_delay_alu instid0(VALU_DEP_3) | instskip(NEXT) | instid1(VALU_DEP_3)
	v_dual_fmac_f32 v20, 0x3f5db3d7, v31 :: v_dual_fmac_f32 v21, 0x3f5db3d7, v32
	v_dual_mul_f32 v24, 0xbf248dbb, v45 :: v_dual_mul_f32 v23, 0xbf248dbb, v46
	s_wait_dscnt 0x0
	v_dual_fmamk_f32 v17, v35, 0x3f441b7d, v33 :: v_dual_fmamk_f32 v18, v36, 0x3f441b7d, v34
	v_dual_fmamk_f32 v25, v48, 0x3f441b7d, v34 :: v_dual_add_f32 v26, v45, v41
	s_delay_alu instid0(VALU_DEP_3) | instskip(NEXT) | instid1(VALU_DEP_3)
	v_dual_fmac_f32 v23, 0x3f7c1c5c, v42 :: v_dual_fmac_f32 v24, 0x3f7c1c5c, v41
	v_dual_fmac_f32 v17, 0x3e31d0d4, v37 :: v_dual_fmac_f32 v18, 0x3e31d0d4, v38
	v_fmamk_f32 v19, v47, 0x3f441b7d, v33
	v_fmac_f32_e32 v20, 0x3eaf1d44, v45
	s_delay_alu instid0(VALU_DEP_4) | instskip(NEXT) | instid1(VALU_DEP_4)
	v_dual_fmac_f32 v23, 0xbf5db3d7, v32 :: v_dual_fmac_f32 v24, 0xbf5db3d7, v31
	v_dual_fmac_f32 v17, -0.5, v39 :: v_dual_fmac_f32 v18, -0.5, v40
	global_wb scope:SCOPE_SE
	v_dual_fmac_f32 v23, 0x3eaf1d44, v44 :: v_dual_fmac_f32 v24, 0x3eaf1d44, v43
	v_dual_fmac_f32 v17, 0xbf708fb2, v47 :: v_dual_fmac_f32 v18, 0xbf708fb2, v48
	v_dual_fmac_f32 v21, 0x3eaf1d44, v46 :: v_dual_add_f32 v50, v38, v36
	v_fmac_f32_e32 v25, 0x3e31d0d4, v36
	v_sub_f32_e32 v49, v26, v43
	s_delay_alu instid0(VALU_DEP_3) | instskip(NEXT) | instid1(VALU_DEP_3)
	v_dual_sub_f32 v18, v18, v20 :: v_dual_add_f32 v17, v21, v17
	v_dual_add_f32 v54, v40, v50 :: v_dual_fmac_f32 v25, -0.5, v40
	v_add_f32_e32 v26, v40, v34
	s_delay_alu instid0(VALU_DEP_4) | instskip(NEXT) | instid1(VALU_DEP_4)
	v_dual_add_f32 v50, v48, v50 :: v_dual_mul_f32 v53, 0x3f5db3d7, v49
	v_fma_f32 v22, 2.0, v20, v18
	s_delay_alu instid0(VALU_DEP_4) | instskip(NEXT) | instid1(VALU_DEP_3)
	v_fmac_f32_e32 v25, 0xbf708fb2, v38
	v_dual_fmac_f32 v19, 0x3e31d0d4, v35 :: v_dual_fmac_f32 v26, -0.5, v50
	v_fma_f32 v21, -2.0, v21, v17
	s_barrier_signal -1
	s_delay_alu instid0(VALU_DEP_3) | instskip(NEXT) | instid1(VALU_DEP_3)
	v_dual_sub_f32 v20, v25, v24 :: v_dual_add_f32 v25, v46, v42
	v_dual_fmac_f32 v26, 0xbf5db3d7, v49 :: v_dual_fmac_f32 v19, -0.5, v39
	v_add_f32_e32 v28, v28, v54
	v_mul_f32_e32 v46, 0x3f7c1c5c, v46
	s_delay_alu instid0(VALU_DEP_4) | instskip(NEXT) | instid1(VALU_DEP_3)
	v_dual_sub_f32 v52, v25, v44 :: v_dual_add_f32 v55, v47, v51
	v_dual_fmac_f32 v19, 0xbf708fb2, v37 :: v_dual_add_f32 v28, v30, v28
	v_add_f32_e32 v25, v39, v33
	v_fmamk_f32 v37, v37, 0x3f441b7d, v33
	v_fma_f32 v44, 0xbf248dbb, v44, -v46
	v_and_b32_e32 v30, 0xff, v9
	v_add_f32_e32 v28, v28, v34
	v_fmac_f32_e32 v34, 0x3f441b7d, v38
	v_dual_mov_b32 v38, 0 :: v_dual_fmac_f32 v37, 0x3e31d0d4, v47
	v_dual_fmac_f32 v25, -0.5, v55 :: v_dual_fmac_f32 v44, 0x3f5db3d7, v32
	s_delay_alu instid0(VALU_DEP_3) | instskip(SKIP_3) | instid1(VALU_DEP_4)
	v_fmac_f32_e32 v34, 0x3e31d0d4, v48
	v_mul_f32_e32 v45, 0x3f7c1c5c, v45
	v_dual_add_f32 v19, v19, v23 :: v_dual_mul_f32 v56, 0x3f5db3d7, v52
	v_lshl_add_u32 v55, v15, 3, v16
	v_fmac_f32_e32 v34, -0.5, v40
	s_delay_alu instid0(VALU_DEP_4)
	v_fma_f32 v43, 0xbf248dbb, v43, -v45
	v_fmac_f32_e32 v37, -0.5, v39
	v_fma_f32 v23, -2.0, v23, v19
	v_fma_f32 v24, 2.0, v24, v20
	v_fmac_f32_e32 v34, 0xbf708fb2, v36
	v_fmac_f32_e32 v43, 0x3f5db3d7, v31
	v_add_f32_e32 v31, v39, v51
	v_mul_lo_u16 v32, v30, 57
	v_fmac_f32_e32 v44, 0x3eaf1d44, v42
	v_fmac_f32_e32 v37, 0xbf708fb2, v35
	;; [unrolled: 1-line block ×3, first 2 shown]
	v_add_f32_e32 v27, v27, v31
	v_lshrrev_b16 v39, 9, v32
	v_fmac_f32_e32 v25, 0x3f5db3d7, v52
	s_delay_alu instid0(VALU_DEP_4) | instskip(NEXT) | instid1(VALU_DEP_4)
	v_dual_add_f32 v35, v44, v37 :: v_dual_sub_f32 v36, v34, v43
	v_add_f32_e32 v27, v29, v27
	s_delay_alu instid0(VALU_DEP_4)
	v_mul_lo_u16 v29, v39, 9
	v_lshlrev_b32_e32 v37, 1, v15
	v_lshl_add_u32 v34, v9, 6, v12
	v_fma_f32 v30, -2.0, v56, v25
	v_add_f32_e32 v27, v27, v33
	v_sub_nc_u16 v29, v9, v29
	v_fma_f32 v33, 2.0, v43, v36
	v_lshl_add_u32 v56, v14, 3, v16
	v_lshlrev_b64_e32 v[15:16], 3, v[37:38]
	v_lshlrev_b32_e32 v37, 1, v14
	v_and_b32_e32 v41, 0xff, v29
	v_and_b32_e32 v14, 0xffff, v39
	v_fma_f32 v32, -2.0, v44, v35
	v_fma_f32 v31, 2.0, v53, v26
	s_barrier_wait -1
	v_lshlrev_b32_e32 v29, 6, v41
	global_inv scope:SCOPE_SE
	ds_store_2addr_b64 v34, v[27:28], v[17:18] offset1:1
	ds_store_2addr_b64 v34, v[19:20], v[25:26] offset0:2 offset1:3
	ds_store_2addr_b64 v34, v[35:36], v[32:33] offset0:4 offset1:5
	;; [unrolled: 1-line block ×3, first 2 shown]
	ds_store_b64 v34, v[21:22] offset:64
	global_wb scope:SCOPE_SE
	s_wait_dscnt 0x0
	s_barrier_signal -1
	s_barrier_wait -1
	global_inv scope:SCOPE_SE
	s_clause 0x3
	global_load_b128 v[17:20], v29, s[8:9]
	global_load_b128 v[21:24], v29, s[8:9] offset:16
	global_load_b128 v[25:28], v29, s[8:9] offset:32
	;; [unrolled: 1-line block ×3, first 2 shown]
	ds_load_b64 v[45:46], v55
	ds_load_b64 v[47:48], v56
	;; [unrolled: 1-line block ×3, first 2 shown]
	ds_load_2addr_b64 v[33:36], v12 offset0:81 offset1:108
	v_lshlrev_b32_e32 v58, 3, v41
	ds_load_2addr_b64 v[41:44], v12 offset0:189 offset1:216
	v_lshlrev_b64_e32 v[51:52], 3, v[37:38]
	ds_load_2addr_b64 v[37:40], v12 offset0:135 offset1:162
	v_mad_u32_u24 v14, 0x288, v14, 0
	v_add_co_u32 v53, s0, s8, v15
	s_wait_alu 0xf1ff
	v_add_co_ci_u32_e64 v54, s0, s9, v16, s0
	s_delay_alu instid0(VALU_DEP_3)
	v_add3_u32 v58, v14, v58, v13
	v_lshlrev_b32_e32 v57, 4, v9
	global_wb scope:SCOPE_SE
	s_wait_loadcnt_dscnt 0x0
	s_barrier_signal -1
	s_barrier_wait -1
	global_inv scope:SCOPE_SE
	v_mul_f32_e32 v13, v18, v46
	v_dual_mul_f32 v14, v18, v45 :: v_dual_mul_f32 v15, v20, v48
	v_mul_f32_e32 v16, v20, v47
	v_mul_f32_e32 v18, v22, v34
	;; [unrolled: 1-line block ×4, first 2 shown]
	v_dual_mul_f32 v24, v24, v35 :: v_dual_mul_f32 v61, v42, v30
	v_fmac_f32_e32 v16, v19, v48
	v_dual_mul_f32 v62, v44, v32 :: v_dual_mul_f32 v59, v26, v38
	v_mul_f32_e32 v32, v43, v32
	v_mul_f32_e32 v26, v26, v37
	;; [unrolled: 1-line block ×5, first 2 shown]
	v_fma_f32 v13, v17, v45, -v13
	v_fma_f32 v15, v19, v47, -v15
	v_fmac_f32_e32 v14, v17, v46
	v_fma_f32 v17, v21, v33, -v18
	v_fma_f32 v18, v23, v35, -v22
	;; [unrolled: 1-line block ×3, first 2 shown]
	v_fmac_f32_e32 v24, v23, v36
	v_fma_f32 v23, v41, v29, -v61
	v_fma_f32 v19, v25, v37, -v59
	v_fmac_f32_e32 v26, v25, v38
	v_dual_fmac_f32 v32, v44, v31 :: v_dual_add_f32 v25, v13, v22
	s_delay_alu instid0(VALU_DEP_4)
	v_dual_fmac_f32 v30, v42, v29 :: v_dual_add_f32 v29, v15, v23
	v_fmac_f32_e32 v20, v21, v34
	v_fma_f32 v21, v39, v27, -v60
	v_fmac_f32_e32 v28, v40, v27
	v_sub_f32_e32 v15, v15, v23
	v_sub_f32_e32 v23, v24, v26
	v_fmamk_f32 v37, v25, 0x3f441b7d, v49
	v_add_f32_e32 v33, v17, v21
	v_sub_f32_e32 v17, v17, v21
	v_add_f32_e32 v27, v14, v32
	v_dual_add_f32 v34, v20, v28 :: v_dual_sub_f32 v21, v18, v19
	v_sub_f32_e32 v22, v13, v22
	v_dual_add_f32 v31, v16, v30 :: v_dual_sub_f32 v32, v14, v32
	s_delay_alu instid0(VALU_DEP_3) | instskip(NEXT) | instid1(VALU_DEP_3)
	v_dual_sub_f32 v16, v16, v30 :: v_dual_mul_f32 v39, 0xbf248dbb, v21
	v_dual_sub_f32 v20, v20, v28 :: v_dual_mul_f32 v35, 0x3f248dbb, v22
	v_dual_add_f32 v28, v18, v19 :: v_dual_add_f32 v43, v21, v22
	v_dual_add_f32 v30, v24, v26 :: v_dual_add_f32 v13, v33, v49
	v_dual_mul_f32 v36, 0x3f248dbb, v32 :: v_dual_add_f32 v45, v29, v25
	s_delay_alu instid0(VALU_DEP_3)
	v_dual_fmamk_f32 v38, v27, 0x3f441b7d, v50 :: v_dual_fmamk_f32 v41, v28, 0x3f441b7d, v49
	v_dual_add_f32 v44, v23, v32 :: v_dual_mul_f32 v47, 0x3f7c1c5c, v21
	v_dual_add_f32 v14, v34, v50 :: v_dual_fmac_f32 v35, 0x3f7c1c5c, v15
	v_dual_add_f32 v46, v31, v27 :: v_dual_fmac_f32 v37, 0x3e31d0d4, v29
	v_mul_f32_e32 v40, 0xbf248dbb, v23
	v_dual_mul_f32 v48, 0x3f7c1c5c, v23 :: v_dual_fmac_f32 v39, 0x3f7c1c5c, v22
	v_dual_fmac_f32 v36, 0x3f7c1c5c, v16 :: v_dual_sub_f32 v43, v43, v15
	v_dual_fmac_f32 v38, 0x3e31d0d4, v31 :: v_dual_fmac_f32 v41, 0x3e31d0d4, v25
	v_dual_sub_f32 v44, v44, v16 :: v_dual_fmac_f32 v35, 0x3f5db3d7, v17
	v_dual_add_f32 v60, v28, v45 :: v_dual_add_f32 v61, v30, v46
	v_dual_fmac_f32 v40, 0x3f7c1c5c, v32 :: v_dual_add_f32 v45, v33, v45
	v_fma_f32 v47, 0xbf248dbb, v15, -v47
	v_dual_add_f32 v46, v34, v46 :: v_dual_fmac_f32 v37, -0.5, v33
	v_dual_fmamk_f32 v42, v30, 0x3f441b7d, v50 :: v_dual_fmamk_f32 v59, v29, 0x3f441b7d, v49
	v_dual_fmac_f32 v38, -0.5, v34 :: v_dual_fmac_f32 v39, 0xbf5db3d7, v17
	v_fmac_f32_e32 v40, 0xbf5db3d7, v20
	v_dual_mul_f32 v62, 0x3f5db3d7, v43 :: v_dual_fmac_f32 v47, 0x3f5db3d7, v17
	v_dual_add_f32 v17, v18, v45 :: v_dual_add_f32 v18, v24, v46
	v_fmac_f32_e32 v35, 0x3eaf1d44, v21
	v_dual_fmac_f32 v42, 0x3e31d0d4, v27 :: v_dual_fmac_f32 v59, 0x3e31d0d4, v28
	v_dual_fmac_f32 v36, 0x3f5db3d7, v20 :: v_dual_fmac_f32 v41, -0.5, v33
	s_delay_alu instid0(VALU_DEP_4) | instskip(SKIP_1) | instid1(VALU_DEP_4)
	v_dual_add_f32 v18, v26, v18 :: v_dual_fmac_f32 v39, 0x3eaf1d44, v15
	v_fma_f32 v48, 0xbf248dbb, v16, -v48
	v_dual_mul_f32 v63, 0x3f5db3d7, v44 :: v_dual_fmac_f32 v42, -0.5, v34
	v_dual_fmac_f32 v13, -0.5, v60 :: v_dual_fmac_f32 v14, -0.5, v61
	v_fmac_f32_e32 v37, 0xbf708fb2, v28
	v_dual_fmac_f32 v36, 0x3eaf1d44, v23 :: v_dual_fmac_f32 v47, 0x3eaf1d44, v22
	v_dual_fmac_f32 v40, 0x3eaf1d44, v16 :: v_dual_add_f32 v15, v19, v17
	s_delay_alu instid0(VALU_DEP_4) | instskip(NEXT) | instid1(VALU_DEP_3)
	v_dual_add_f32 v16, v50, v18 :: v_dual_fmac_f32 v13, 0x3f5db3d7, v44
	v_dual_fmac_f32 v50, 0x3f441b7d, v31 :: v_dual_add_f32 v17, v36, v37
	v_dual_fmac_f32 v48, 0x3f5db3d7, v20 :: v_dual_fmac_f32 v59, -0.5, v33
	v_fmac_f32_e32 v42, 0xbf708fb2, v31
	s_delay_alu instid0(VALU_DEP_3) | instskip(NEXT) | instid1(VALU_DEP_3)
	v_dual_fmac_f32 v50, 0x3e31d0d4, v30 :: v_dual_add_f32 v15, v49, v15
	v_fmac_f32_e32 v48, 0x3eaf1d44, v32
	s_delay_alu instid0(VALU_DEP_4) | instskip(NEXT) | instid1(VALU_DEP_3)
	v_dual_fmac_f32 v59, 0xbf708fb2, v25 :: v_dual_fmac_f32 v38, 0xbf708fb2, v30
	v_dual_fmac_f32 v41, 0xbf708fb2, v29 :: v_dual_fmac_f32 v50, -0.5, v34
	v_fmac_f32_e32 v14, 0xbf5db3d7, v43
	s_delay_alu instid0(VALU_DEP_3) | instskip(NEXT) | instid1(VALU_DEP_3)
	v_add_f32_e32 v23, v48, v59
	v_dual_sub_f32 v20, v42, v39 :: v_dual_add_f32 v19, v40, v41
	s_delay_alu instid0(VALU_DEP_4)
	v_fmac_f32_e32 v50, 0xbf708fb2, v27
	v_sub_f32_e32 v18, v38, v35
	v_fma_f32 v21, -2.0, v63, v13
	v_fma_f32 v22, 2.0, v62, v14
	v_fma_f32 v27, -2.0, v40, v19
	v_sub_f32_e32 v24, v50, v47
	v_fma_f32 v28, 2.0, v39, v20
	v_fma_f32 v25, -2.0, v36, v17
	v_fma_f32 v26, 2.0, v35, v18
	v_fma_f32 v29, -2.0, v48, v23
	v_fma_f32 v30, 2.0, v47, v24
	ds_store_2addr_b64 v58, v[15:16], v[17:18] offset1:9
	ds_store_2addr_b64 v58, v[19:20], v[13:14] offset0:18 offset1:27
	ds_store_2addr_b64 v58, v[21:22], v[27:28] offset0:54 offset1:63
	ds_store_b64 v58, v[25:26] offset:576
	ds_store_2addr_b64 v58, v[23:24], v[29:30] offset0:36 offset1:45
	v_add_co_u32 v21, s0, s8, v51
	s_wait_alu 0xf1ff
	v_add_co_ci_u32_e64 v22, s0, s9, v52, s0
	global_wb scope:SCOPE_SE
	s_wait_dscnt 0x0
	s_barrier_signal -1
	s_barrier_wait -1
	global_inv scope:SCOPE_SE
	s_clause 0x2
	global_load_b128 v[13:16], v57, s[8:9] offset:576
	global_load_b128 v[17:20], v[53:54], off offset:576
	global_load_b128 v[21:24], v[21:22], off offset:576
	ds_load_2addr_b64 v[25:28], v12 offset0:81 offset1:108
	ds_load_2addr_b64 v[29:32], v12 offset0:135 offset1:162
	;; [unrolled: 1-line block ×3, first 2 shown]
	ds_load_b64 v[37:38], v11
	ds_load_b64 v[39:40], v55
	ds_load_b64 v[41:42], v56
	global_wb scope:SCOPE_SE
	s_wait_loadcnt_dscnt 0x0
	s_barrier_signal -1
	s_barrier_wait -1
	global_inv scope:SCOPE_SE
	v_mul_f32_e32 v43, v14, v26
	v_mul_f32_e32 v45, v18, v28
	;; [unrolled: 1-line block ×3, first 2 shown]
	v_dual_mul_f32 v44, v16, v32 :: v_dual_mul_f32 v47, v22, v30
	v_mul_f32_e32 v22, v22, v29
	s_delay_alu instid0(VALU_DEP_3) | instskip(SKIP_2) | instid1(VALU_DEP_4)
	v_fmac_f32_e32 v18, v17, v28
	v_mul_f32_e32 v14, v14, v25
	v_fma_f32 v25, v13, v25, -v43
	v_fmac_f32_e32 v22, v21, v30
	s_delay_alu instid0(VALU_DEP_3) | instskip(SKIP_3) | instid1(VALU_DEP_1)
	v_fmac_f32_e32 v14, v13, v26
	v_fma_f32 v13, v15, v31, -v44
	v_mul_f32_e32 v48, v36, v24
	v_mul_f32_e32 v24, v35, v24
	v_fmac_f32_e32 v24, v36, v23
	s_delay_alu instid0(VALU_DEP_1) | instskip(NEXT) | instid1(VALU_DEP_1)
	v_dual_mul_f32 v16, v16, v31 :: v_dual_sub_f32 v43, v22, v24
	v_fmac_f32_e32 v16, v15, v32
	v_mul_f32_e32 v46, v20, v34
	v_fma_f32 v15, v17, v27, -v45
	s_delay_alu instid0(VALU_DEP_3) | instskip(NEXT) | instid1(VALU_DEP_3)
	v_dual_mul_f32 v20, v20, v33 :: v_dual_sub_f32 v27, v14, v16
	v_fma_f32 v17, v19, v33, -v46
	s_delay_alu instid0(VALU_DEP_3) | instskip(NEXT) | instid1(VALU_DEP_2)
	v_add_f32_e32 v30, v39, v15
	v_add_f32_e32 v31, v15, v17
	s_delay_alu instid0(VALU_DEP_1)
	v_fma_f32 v39, -0.5, v31, v39
	v_fmac_f32_e32 v20, v19, v34
	v_fma_f32 v19, v21, v29, -v47
	v_fma_f32 v21, v35, v23, -v48
	v_add_f32_e32 v23, v37, v25
	v_sub_f32_e32 v34, v15, v17
	v_add_f32_e32 v15, v30, v17
	s_delay_alu instid0(VALU_DEP_4) | instskip(SKIP_1) | instid1(VALU_DEP_2)
	v_dual_add_f32 v35, v41, v19 :: v_dual_add_f32 v36, v19, v21
	v_sub_f32_e32 v45, v19, v21
	v_add_f32_e32 v17, v35, v21
	s_delay_alu instid0(VALU_DEP_3) | instskip(SKIP_3) | instid1(VALU_DEP_4)
	v_fma_f32 v41, -0.5, v36, v41
	v_add_f32_e32 v26, v25, v13
	v_sub_f32_e32 v25, v25, v13
	v_dual_add_f32 v13, v23, v13 :: v_dual_add_f32 v28, v38, v14
	v_fmamk_f32 v23, v43, 0x3f5db3d7, v41
	v_fmac_f32_e32 v41, 0xbf5db3d7, v43
	v_fma_f32 v37, -0.5, v26, v37
	s_delay_alu instid0(VALU_DEP_1)
	v_dual_fmamk_f32 v19, v27, 0x3f5db3d7, v37 :: v_dual_sub_f32 v32, v18, v20
	v_fmac_f32_e32 v37, 0xbf5db3d7, v27
	v_add_f32_e32 v29, v14, v16
	v_add_f32_e32 v33, v40, v18
	;; [unrolled: 1-line block ×3, first 2 shown]
	v_dual_fmamk_f32 v21, v32, 0x3f5db3d7, v39 :: v_dual_add_f32 v18, v18, v20
	v_dual_fmac_f32 v39, 0xbf5db3d7, v32 :: v_dual_add_f32 v44, v42, v22
	v_add_f32_e32 v22, v22, v24
	v_fmac_f32_e32 v38, -0.5, v29
	s_delay_alu instid0(VALU_DEP_4)
	v_fmac_f32_e32 v40, -0.5, v18
	v_add_f32_e32 v16, v33, v20
	v_add_f32_e32 v18, v44, v24
	v_fmac_f32_e32 v42, -0.5, v22
	v_fmamk_f32 v20, v25, 0xbf5db3d7, v38
	v_fmac_f32_e32 v38, 0x3f5db3d7, v25
	v_fmamk_f32 v22, v34, 0xbf5db3d7, v40
	v_fmac_f32_e32 v40, 0x3f5db3d7, v34
	;; [unrolled: 2-line block ×3, first 2 shown]
	ds_store_2addr_b64 v12, v[13:14], v[19:20] offset1:81
	ds_store_b64 v12, v[37:38] offset:1296
	ds_store_2addr_b64 v55, v[15:16], v[21:22] offset1:81
	ds_store_b64 v55, v[39:40] offset:1296
	;; [unrolled: 2-line block ×3, first 2 shown]
	global_wb scope:SCOPE_SE
	s_wait_dscnt 0x0
	s_barrier_signal -1
	s_barrier_wait -1
	global_inv scope:SCOPE_SE
	s_and_saveexec_b32 s0, vcc_lo
	s_cbranch_execz .LBB0_6
; %bb.5:
	v_mad_co_u64_u32 v[20:21], null, s4, v7, 0
	v_mad_co_u64_u32 v[16:17], null, s4, v9, 0
	;; [unrolled: 1-line block ×3, first 2 shown]
	ds_load_2addr_b64 v[12:15], v11 offset1:27
	v_mov_b32_e32 v18, v21
	s_delay_alu instid0(VALU_DEP_1) | instskip(SKIP_3) | instid1(VALU_DEP_3)
	v_mad_co_u64_u32 v[24:25], null, s5, v9, v[17:18]
	v_mov_b32_e32 v9, v23
	v_mad_co_u64_u32 v[25:26], null, s4, v10, 0
	v_mad_co_u64_u32 v[27:28], null, s5, v7, v[18:19]
	;; [unrolled: 1-line block ×3, first 2 shown]
	v_mov_b32_e32 v17, v24
	v_add_co_u32 v24, vcc_lo, s2, v0
	v_mov_b32_e32 v8, v26
	v_add_co_ci_u32_e32 v28, vcc_lo, s3, v1, vcc_lo
	v_mov_b32_e32 v23, v7
	v_lshlrev_b64_e32 v[0:1], 3, v[16:17]
	s_delay_alu instid0(VALU_DEP_4)
	v_mad_co_u64_u32 v[7:8], null, s5, v10, v[8:9]
	v_mov_b32_e32 v21, v27
	ds_load_2addr_b64 v[16:19], v11 offset0:54 offset1:81
	v_add_co_u32 v0, vcc_lo, v24, v0
	s_wait_alu 0xfffd
	v_add_co_ci_u32_e32 v1, vcc_lo, v28, v1, vcc_lo
	v_mov_b32_e32 v26, v7
	v_lshlrev_b64_e32 v[8:9], 3, v[20:21]
	v_lshlrev_b64_e32 v[20:21], 3, v[22:23]
	s_wait_dscnt 0x1
	global_store_b64 v[0:1], v[12:13], off
	v_mad_co_u64_u32 v[0:1], null, s4, v6, 0
	v_mad_co_u64_u32 v[22:23], null, s4, v3, 0
	v_add_co_u32 v8, vcc_lo, v24, v8
	s_wait_alu 0xfffd
	v_add_co_ci_u32_e32 v9, vcc_lo, v28, v9, vcc_lo
	v_add_co_u32 v12, vcc_lo, v24, v20
	s_wait_alu 0xfffd
	v_add_co_ci_u32_e32 v13, vcc_lo, v28, v21, vcc_lo
	v_mad_co_u64_u32 v[20:21], null, s4, v5, 0
	global_store_b64 v[8:9], v[14:15], off
	s_wait_dscnt 0x0
	global_store_b64 v[12:13], v[16:17], off
	v_lshlrev_b64_e32 v[7:8], 3, v[25:26]
	v_mad_co_u64_u32 v[16:17], null, s4, v4, 0
	v_mad_co_u64_u32 v[9:10], null, s5, v6, v[1:2]
	v_mov_b32_e32 v1, v21
	s_delay_alu instid0(VALU_DEP_4) | instskip(SKIP_2) | instid1(VALU_DEP_3)
	v_add_co_u32 v6, vcc_lo, v24, v7
	s_wait_alu 0xfffd
	v_add_co_ci_u32_e32 v7, vcc_lo, v28, v8, vcc_lo
	v_mad_co_u64_u32 v[12:13], null, s5, v5, v[1:2]
	v_mov_b32_e32 v5, v17
	v_mov_b32_e32 v1, v9
	global_store_b64 v[6:7], v[18:19], off
	v_mad_co_u64_u32 v[18:19], null, s4, v2, 0
	v_mad_co_u64_u32 v[8:9], null, s5, v4, v[5:6]
	ds_load_2addr_b64 v[4:7], v11 offset0:108 offset1:135
	v_mov_b32_e32 v9, v23
	v_mov_b32_e32 v21, v12
	v_lshlrev_b64_e32 v[0:1], 3, v[0:1]
	ds_load_2addr_b64 v[12:15], v11 offset0:162 offset1:189
	v_mov_b32_e32 v17, v8
	v_mad_co_u64_u32 v[8:9], null, s5, v3, v[9:10]
	v_mov_b32_e32 v3, v19
	v_lshlrev_b64_e32 v[9:10], 3, v[20:21]
	v_add_co_u32 v0, vcc_lo, v24, v0
	s_wait_alu 0xfffd
	v_add_co_ci_u32_e32 v1, vcc_lo, v28, v1, vcc_lo
	v_mov_b32_e32 v23, v8
	s_delay_alu instid0(VALU_DEP_4)
	v_add_co_u32 v8, vcc_lo, v24, v9
	v_lshlrev_b64_e32 v[16:17], 3, v[16:17]
	s_wait_alu 0xfffd
	v_add_co_ci_u32_e32 v9, vcc_lo, v28, v10, vcc_lo
	s_wait_dscnt 0x1
	v_mad_co_u64_u32 v[2:3], null, s5, v2, v[3:4]
	ds_load_b64 v[10:11], v11 offset:1728
	v_lshlrev_b64_e32 v[20:21], 3, v[22:23]
	v_mov_b32_e32 v19, v2
	v_add_co_u32 v2, vcc_lo, v24, v16
	s_wait_alu 0xfffd
	v_add_co_ci_u32_e32 v3, vcc_lo, v28, v17, vcc_lo
	s_delay_alu instid0(VALU_DEP_3) | instskip(SKIP_3) | instid1(VALU_DEP_3)
	v_lshlrev_b64_e32 v[16:17], 3, v[18:19]
	v_add_co_u32 v18, vcc_lo, v24, v20
	s_wait_alu 0xfffd
	v_add_co_ci_u32_e32 v19, vcc_lo, v28, v21, vcc_lo
	v_add_co_u32 v16, vcc_lo, v24, v16
	s_wait_alu 0xfffd
	v_add_co_ci_u32_e32 v17, vcc_lo, v28, v17, vcc_lo
	s_clause 0x1
	global_store_b64 v[0:1], v[4:5], off
	global_store_b64 v[8:9], v[6:7], off
	s_wait_dscnt 0x1
	s_clause 0x1
	global_store_b64 v[2:3], v[12:13], off
	global_store_b64 v[18:19], v[14:15], off
	s_wait_dscnt 0x0
	global_store_b64 v[16:17], v[10:11], off
.LBB0_6:
	s_nop 0
	s_sendmsg sendmsg(MSG_DEALLOC_VGPRS)
	s_endpgm
	.section	.rodata,"a",@progbits
	.p2align	6, 0x0
	.amdhsa_kernel fft_rtc_fwd_len243_factors_9_9_3_wgs_108_tpt_27_dim1_sp_ip_CI_sbrr
		.amdhsa_group_segment_fixed_size 0
		.amdhsa_private_segment_fixed_size 0
		.amdhsa_kernarg_size 80
		.amdhsa_user_sgpr_count 2
		.amdhsa_user_sgpr_dispatch_ptr 0
		.amdhsa_user_sgpr_queue_ptr 0
		.amdhsa_user_sgpr_kernarg_segment_ptr 1
		.amdhsa_user_sgpr_dispatch_id 0
		.amdhsa_user_sgpr_private_segment_size 0
		.amdhsa_wavefront_size32 1
		.amdhsa_uses_dynamic_stack 0
		.amdhsa_enable_private_segment 0
		.amdhsa_system_sgpr_workgroup_id_x 1
		.amdhsa_system_sgpr_workgroup_id_y 0
		.amdhsa_system_sgpr_workgroup_id_z 0
		.amdhsa_system_sgpr_workgroup_info 0
		.amdhsa_system_vgpr_workitem_id 0
		.amdhsa_next_free_vgpr 64
		.amdhsa_next_free_sgpr 12
		.amdhsa_reserve_vcc 1
		.amdhsa_float_round_mode_32 0
		.amdhsa_float_round_mode_16_64 0
		.amdhsa_float_denorm_mode_32 3
		.amdhsa_float_denorm_mode_16_64 3
		.amdhsa_fp16_overflow 0
		.amdhsa_workgroup_processor_mode 1
		.amdhsa_memory_ordered 1
		.amdhsa_forward_progress 0
		.amdhsa_round_robin_scheduling 0
		.amdhsa_exception_fp_ieee_invalid_op 0
		.amdhsa_exception_fp_denorm_src 0
		.amdhsa_exception_fp_ieee_div_zero 0
		.amdhsa_exception_fp_ieee_overflow 0
		.amdhsa_exception_fp_ieee_underflow 0
		.amdhsa_exception_fp_ieee_inexact 0
		.amdhsa_exception_int_div_zero 0
	.end_amdhsa_kernel
	.text
.Lfunc_end0:
	.size	fft_rtc_fwd_len243_factors_9_9_3_wgs_108_tpt_27_dim1_sp_ip_CI_sbrr, .Lfunc_end0-fft_rtc_fwd_len243_factors_9_9_3_wgs_108_tpt_27_dim1_sp_ip_CI_sbrr
                                        ; -- End function
	.section	.AMDGPU.csdata,"",@progbits
; Kernel info:
; codeLenInByte = 4188
; NumSgprs: 14
; NumVgprs: 64
; ScratchSize: 0
; MemoryBound: 0
; FloatMode: 240
; IeeeMode: 1
; LDSByteSize: 0 bytes/workgroup (compile time only)
; SGPRBlocks: 1
; VGPRBlocks: 7
; NumSGPRsForWavesPerEU: 14
; NumVGPRsForWavesPerEU: 64
; Occupancy: 16
; WaveLimiterHint : 1
; COMPUTE_PGM_RSRC2:SCRATCH_EN: 0
; COMPUTE_PGM_RSRC2:USER_SGPR: 2
; COMPUTE_PGM_RSRC2:TRAP_HANDLER: 0
; COMPUTE_PGM_RSRC2:TGID_X_EN: 1
; COMPUTE_PGM_RSRC2:TGID_Y_EN: 0
; COMPUTE_PGM_RSRC2:TGID_Z_EN: 0
; COMPUTE_PGM_RSRC2:TIDIG_COMP_CNT: 0
	.text
	.p2alignl 7, 3214868480
	.fill 96, 4, 3214868480
	.type	__hip_cuid_d02264ba8bcbf063,@object ; @__hip_cuid_d02264ba8bcbf063
	.section	.bss,"aw",@nobits
	.globl	__hip_cuid_d02264ba8bcbf063
__hip_cuid_d02264ba8bcbf063:
	.byte	0                               ; 0x0
	.size	__hip_cuid_d02264ba8bcbf063, 1

	.ident	"AMD clang version 19.0.0git (https://github.com/RadeonOpenCompute/llvm-project roc-6.4.0 25133 c7fe45cf4b819c5991fe208aaa96edf142730f1d)"
	.section	".note.GNU-stack","",@progbits
	.addrsig
	.addrsig_sym __hip_cuid_d02264ba8bcbf063
	.amdgpu_metadata
---
amdhsa.kernels:
  - .args:
      - .actual_access:  read_only
        .address_space:  global
        .offset:         0
        .size:           8
        .value_kind:     global_buffer
      - .actual_access:  read_only
        .address_space:  global
        .offset:         8
        .size:           8
        .value_kind:     global_buffer
      - .actual_access:  read_only
        .address_space:  global
        .offset:         16
        .size:           8
        .value_kind:     global_buffer
      - .offset:         24
        .size:           8
        .value_kind:     by_value
      - .actual_access:  read_only
        .address_space:  global
        .offset:         32
        .size:           8
        .value_kind:     global_buffer
      - .actual_access:  read_only
        .address_space:  global
        .offset:         40
        .size:           8
        .value_kind:     global_buffer
      - .offset:         48
        .size:           4
        .value_kind:     by_value
      - .actual_access:  read_only
        .address_space:  global
        .offset:         56
        .size:           8
        .value_kind:     global_buffer
      - .actual_access:  read_only
        .address_space:  global
        .offset:         64
        .size:           8
        .value_kind:     global_buffer
      - .address_space:  global
        .offset:         72
        .size:           8
        .value_kind:     global_buffer
    .group_segment_fixed_size: 0
    .kernarg_segment_align: 8
    .kernarg_segment_size: 80
    .language:       OpenCL C
    .language_version:
      - 2
      - 0
    .max_flat_workgroup_size: 108
    .name:           fft_rtc_fwd_len243_factors_9_9_3_wgs_108_tpt_27_dim1_sp_ip_CI_sbrr
    .private_segment_fixed_size: 0
    .sgpr_count:     14
    .sgpr_spill_count: 0
    .symbol:         fft_rtc_fwd_len243_factors_9_9_3_wgs_108_tpt_27_dim1_sp_ip_CI_sbrr.kd
    .uniform_work_group_size: 1
    .uses_dynamic_stack: false
    .vgpr_count:     64
    .vgpr_spill_count: 0
    .wavefront_size: 32
    .workgroup_processor_mode: 1
amdhsa.target:   amdgcn-amd-amdhsa--gfx1201
amdhsa.version:
  - 1
  - 2
...

	.end_amdgpu_metadata
